;; amdgpu-corpus repo=ROCm/rocFFT kind=compiled arch=gfx950 opt=O3
	.text
	.amdgcn_target "amdgcn-amd-amdhsa--gfx950"
	.amdhsa_code_object_version 6
	.protected	fft_rtc_back_len2592_factors_6_6_6_6_2_wgs_216_tpt_216_halfLds_half_ip_CI_unitstride_sbrr_dirReg ; -- Begin function fft_rtc_back_len2592_factors_6_6_6_6_2_wgs_216_tpt_216_halfLds_half_ip_CI_unitstride_sbrr_dirReg
	.globl	fft_rtc_back_len2592_factors_6_6_6_6_2_wgs_216_tpt_216_halfLds_half_ip_CI_unitstride_sbrr_dirReg
	.p2align	8
	.type	fft_rtc_back_len2592_factors_6_6_6_6_2_wgs_216_tpt_216_halfLds_half_ip_CI_unitstride_sbrr_dirReg,@function
fft_rtc_back_len2592_factors_6_6_6_6_2_wgs_216_tpt_216_halfLds_half_ip_CI_unitstride_sbrr_dirReg: ; @fft_rtc_back_len2592_factors_6_6_6_6_2_wgs_216_tpt_216_halfLds_half_ip_CI_unitstride_sbrr_dirReg
; %bb.0:
	s_load_dwordx2 s[8:9], s[0:1], 0x50
	s_load_dwordx4 s[4:7], s[0:1], 0x0
	s_load_dwordx2 s[10:11], s[0:1], 0x18
	v_mul_u32_u24_e32 v1, 0x130, v0
	v_add_u32_sdwa v6, s2, v1 dst_sel:DWORD dst_unused:UNUSED_PAD src0_sel:DWORD src1_sel:WORD_1
	v_mov_b32_e32 v4, 0
	s_waitcnt lgkmcnt(0)
	v_cmp_lt_u64_e64 s[2:3], s[6:7], 2
	v_mov_b32_e32 v7, v4
	s_and_b64 vcc, exec, s[2:3]
	v_mov_b64_e32 v[2:3], 0
	s_cbranch_vccnz .LBB0_8
; %bb.1:
	s_load_dwordx2 s[2:3], s[0:1], 0x10
	s_add_u32 s12, s10, 8
	s_addc_u32 s13, s11, 0
	s_mov_b64 s[14:15], 1
	v_mov_b64_e32 v[2:3], 0
	s_waitcnt lgkmcnt(0)
	s_add_u32 s16, s2, 8
	s_addc_u32 s17, s3, 0
.LBB0_2:                                ; =>This Inner Loop Header: Depth=1
	s_load_dwordx2 s[18:19], s[16:17], 0x0
                                        ; implicit-def: $vgpr8_vgpr9
	s_waitcnt lgkmcnt(0)
	v_or_b32_e32 v5, s19, v7
	v_cmp_ne_u64_e32 vcc, 0, v[4:5]
	s_and_saveexec_b64 s[2:3], vcc
	s_xor_b64 s[20:21], exec, s[2:3]
	s_cbranch_execz .LBB0_4
; %bb.3:                                ;   in Loop: Header=BB0_2 Depth=1
	v_cvt_f32_u32_e32 v1, s18
	v_cvt_f32_u32_e32 v5, s19
	s_sub_u32 s2, 0, s18
	s_subb_u32 s3, 0, s19
	v_fmac_f32_e32 v1, 0x4f800000, v5
	v_rcp_f32_e32 v1, v1
	s_nop 0
	v_mul_f32_e32 v1, 0x5f7ffffc, v1
	v_mul_f32_e32 v5, 0x2f800000, v1
	v_trunc_f32_e32 v5, v5
	v_fmac_f32_e32 v1, 0xcf800000, v5
	v_cvt_u32_f32_e32 v5, v5
	v_cvt_u32_f32_e32 v1, v1
	v_mul_lo_u32 v8, s2, v5
	v_mul_hi_u32 v10, s2, v1
	v_mul_lo_u32 v9, s3, v1
	v_add_u32_e32 v10, v10, v8
	v_mul_lo_u32 v12, s2, v1
	v_add_u32_e32 v13, v10, v9
	v_mul_hi_u32 v8, v1, v12
	v_mul_hi_u32 v11, v1, v13
	v_mul_lo_u32 v10, v1, v13
	v_mov_b32_e32 v9, v4
	v_lshl_add_u64 v[8:9], v[8:9], 0, v[10:11]
	v_mul_hi_u32 v11, v5, v12
	v_mul_lo_u32 v12, v5, v12
	v_add_co_u32_e32 v8, vcc, v8, v12
	v_mul_hi_u32 v10, v5, v13
	s_nop 0
	v_addc_co_u32_e32 v8, vcc, v9, v11, vcc
	v_mov_b32_e32 v9, v4
	s_nop 0
	v_addc_co_u32_e32 v11, vcc, 0, v10, vcc
	v_mul_lo_u32 v10, v5, v13
	v_lshl_add_u64 v[8:9], v[8:9], 0, v[10:11]
	v_add_co_u32_e32 v1, vcc, v1, v8
	v_mul_lo_u32 v10, s2, v1
	s_nop 0
	v_addc_co_u32_e32 v5, vcc, v5, v9, vcc
	v_mul_lo_u32 v8, s2, v5
	v_mul_hi_u32 v9, s2, v1
	v_add_u32_e32 v8, v9, v8
	v_mul_lo_u32 v9, s3, v1
	v_add_u32_e32 v12, v8, v9
	v_mul_hi_u32 v14, v5, v10
	v_mul_lo_u32 v15, v5, v10
	v_mul_hi_u32 v9, v1, v12
	v_mul_lo_u32 v8, v1, v12
	v_mul_hi_u32 v10, v1, v10
	v_mov_b32_e32 v11, v4
	v_lshl_add_u64 v[8:9], v[10:11], 0, v[8:9]
	v_add_co_u32_e32 v8, vcc, v8, v15
	v_mul_hi_u32 v13, v5, v12
	s_nop 0
	v_addc_co_u32_e32 v8, vcc, v9, v14, vcc
	v_mul_lo_u32 v10, v5, v12
	s_nop 0
	v_addc_co_u32_e32 v11, vcc, 0, v13, vcc
	v_mov_b32_e32 v9, v4
	v_lshl_add_u64 v[8:9], v[8:9], 0, v[10:11]
	v_add_co_u32_e32 v1, vcc, v1, v8
	v_mul_hi_u32 v10, v6, v1
	s_nop 0
	v_addc_co_u32_e32 v5, vcc, v5, v9, vcc
	v_mad_u64_u32 v[8:9], s[2:3], v6, v5, 0
	v_mov_b32_e32 v11, v4
	v_lshl_add_u64 v[8:9], v[10:11], 0, v[8:9]
	v_mad_u64_u32 v[12:13], s[2:3], v7, v1, 0
	v_add_co_u32_e32 v1, vcc, v8, v12
	v_mad_u64_u32 v[10:11], s[2:3], v7, v5, 0
	s_nop 0
	v_addc_co_u32_e32 v8, vcc, v9, v13, vcc
	v_mov_b32_e32 v9, v4
	s_nop 0
	v_addc_co_u32_e32 v11, vcc, 0, v11, vcc
	v_lshl_add_u64 v[8:9], v[8:9], 0, v[10:11]
	v_mul_lo_u32 v1, s19, v8
	v_mul_lo_u32 v5, s18, v9
	v_mad_u64_u32 v[10:11], s[2:3], s18, v8, 0
	v_add3_u32 v1, v11, v5, v1
	v_sub_u32_e32 v5, v7, v1
	v_mov_b32_e32 v11, s19
	v_sub_co_u32_e32 v14, vcc, v6, v10
	v_lshl_add_u64 v[12:13], v[8:9], 0, 1
	s_nop 0
	v_subb_co_u32_e64 v5, s[2:3], v5, v11, vcc
	v_subrev_co_u32_e64 v10, s[2:3], s18, v14
	v_subb_co_u32_e32 v1, vcc, v7, v1, vcc
	s_nop 0
	v_subbrev_co_u32_e64 v5, s[2:3], 0, v5, s[2:3]
	v_cmp_le_u32_e64 s[2:3], s19, v5
	v_cmp_le_u32_e32 vcc, s19, v1
	s_nop 0
	v_cndmask_b32_e64 v11, 0, -1, s[2:3]
	v_cmp_le_u32_e64 s[2:3], s18, v10
	s_nop 1
	v_cndmask_b32_e64 v10, 0, -1, s[2:3]
	v_cmp_eq_u32_e64 s[2:3], s19, v5
	s_nop 1
	v_cndmask_b32_e64 v5, v11, v10, s[2:3]
	v_lshl_add_u64 v[10:11], v[8:9], 0, 2
	v_cmp_ne_u32_e64 s[2:3], 0, v5
	s_nop 1
	v_cndmask_b32_e64 v5, v13, v11, s[2:3]
	v_cndmask_b32_e64 v11, 0, -1, vcc
	v_cmp_le_u32_e32 vcc, s18, v14
	s_nop 1
	v_cndmask_b32_e64 v13, 0, -1, vcc
	v_cmp_eq_u32_e32 vcc, s19, v1
	s_nop 1
	v_cndmask_b32_e32 v1, v11, v13, vcc
	v_cmp_ne_u32_e32 vcc, 0, v1
	v_cndmask_b32_e64 v1, v12, v10, s[2:3]
	s_nop 0
	v_cndmask_b32_e32 v9, v9, v5, vcc
	v_cndmask_b32_e32 v8, v8, v1, vcc
.LBB0_4:                                ;   in Loop: Header=BB0_2 Depth=1
	s_andn2_saveexec_b64 s[2:3], s[20:21]
	s_cbranch_execz .LBB0_6
; %bb.5:                                ;   in Loop: Header=BB0_2 Depth=1
	v_cvt_f32_u32_e32 v1, s18
	s_sub_i32 s20, 0, s18
	v_rcp_iflag_f32_e32 v1, v1
	s_nop 0
	v_mul_f32_e32 v1, 0x4f7ffffe, v1
	v_cvt_u32_f32_e32 v1, v1
	v_mul_lo_u32 v5, s20, v1
	v_mul_hi_u32 v5, v1, v5
	v_add_u32_e32 v1, v1, v5
	v_mul_hi_u32 v1, v6, v1
	v_mul_lo_u32 v5, v1, s18
	v_sub_u32_e32 v5, v6, v5
	v_add_u32_e32 v8, 1, v1
	v_subrev_u32_e32 v9, s18, v5
	v_cmp_le_u32_e32 vcc, s18, v5
	s_nop 1
	v_cndmask_b32_e32 v5, v5, v9, vcc
	v_cndmask_b32_e32 v1, v1, v8, vcc
	v_add_u32_e32 v8, 1, v1
	v_cmp_le_u32_e32 vcc, s18, v5
	v_mov_b32_e32 v9, v4
	s_nop 0
	v_cndmask_b32_e32 v8, v1, v8, vcc
.LBB0_6:                                ;   in Loop: Header=BB0_2 Depth=1
	s_or_b64 exec, exec, s[2:3]
	v_mad_u64_u32 v[10:11], s[2:3], v8, s18, 0
	s_load_dwordx2 s[2:3], s[12:13], 0x0
	v_mul_lo_u32 v1, v9, s18
	v_mul_lo_u32 v5, v8, s19
	v_add3_u32 v1, v11, v5, v1
	v_sub_co_u32_e32 v5, vcc, v6, v10
	s_add_u32 s14, s14, 1
	s_nop 0
	v_subb_co_u32_e32 v1, vcc, v7, v1, vcc
	s_addc_u32 s15, s15, 0
	s_waitcnt lgkmcnt(0)
	v_mul_lo_u32 v1, s2, v1
	v_mul_lo_u32 v6, s3, v5
	v_mad_u64_u32 v[2:3], s[2:3], s2, v5, v[2:3]
	s_add_u32 s12, s12, 8
	v_add3_u32 v3, v6, v3, v1
	s_addc_u32 s13, s13, 0
	v_mov_b64_e32 v[6:7], s[6:7]
	s_add_u32 s16, s16, 8
	v_cmp_ge_u64_e32 vcc, s[14:15], v[6:7]
	s_addc_u32 s17, s17, 0
	s_cbranch_vccnz .LBB0_9
; %bb.7:                                ;   in Loop: Header=BB0_2 Depth=1
	v_mov_b64_e32 v[6:7], v[8:9]
	s_branch .LBB0_2
.LBB0_8:
	v_mov_b64_e32 v[8:9], v[6:7]
.LBB0_9:
	s_lshl_b64 s[2:3], s[6:7], 3
	s_add_u32 s2, s10, s2
	s_addc_u32 s3, s11, s3
	s_load_dwordx2 s[6:7], s[2:3], 0x0
	s_load_dwordx2 s[10:11], s[0:1], 0x20
	s_mov_b32 s2, 0x12f684c
                                        ; implicit-def: $vgpr23
                                        ; implicit-def: $vgpr20
                                        ; implicit-def: $vgpr25
                                        ; implicit-def: $vgpr19
                                        ; implicit-def: $vgpr22
                                        ; implicit-def: $vgpr15
                                        ; implicit-def: $vgpr26
                                        ; implicit-def: $vgpr11
                                        ; implicit-def: $vgpr24
                                        ; implicit-def: $vgpr21
                                        ; implicit-def: $vgpr13
                                        ; implicit-def: $vgpr10
                                        ; implicit-def: $vgpr17
                                        ; implicit-def: $vgpr7
                                        ; implicit-def: $vgpr12
                                        ; implicit-def: $vgpr18
                                        ; implicit-def: $vgpr14
                                        ; implicit-def: $vgpr16
	s_waitcnt lgkmcnt(0)
	v_mul_lo_u32 v1, s6, v9
	v_mul_lo_u32 v6, s7, v8
	v_mad_u64_u32 v[4:5], s[0:1], s6, v8, v[2:3]
	v_add3_u32 v5, v6, v5, v1
	v_mul_hi_u32 v1, v0, s2
	v_mul_u32_u24_e32 v1, 0xd8, v1
	v_cmp_gt_u64_e64 s[0:1], s[10:11], v[8:9]
	v_sub_u32_e32 v2, v0, v1
	v_lshl_add_u64 v[0:1], v[4:5], 2, s[8:9]
                                        ; implicit-def: $vgpr5
                                        ; implicit-def: $vgpr3
                                        ; implicit-def: $vgpr9
                                        ; implicit-def: $vgpr6
                                        ; implicit-def: $vgpr4
                                        ; implicit-def: $vgpr8
	s_and_saveexec_b64 s[2:3], s[0:1]
	s_cbranch_execz .LBB0_11
; %bb.10:
	v_mov_b32_e32 v3, 0
	v_lshl_add_u64 v[12:13], v[2:3], 2, v[0:1]
	s_movk_i32 s6, 0x1000
	v_add_co_u32_e32 v16, vcc, s6, v12
	s_movk_i32 s6, 0x2000
	s_nop 0
	v_addc_co_u32_e32 v17, vcc, 0, v13, vcc
	v_add_co_u32_e32 v22, vcc, s6, v12
	global_load_dword v5, v[12:13], off
	global_load_dword v3, v[12:13], off offset:1728
	v_addc_co_u32_e32 v23, vcc, 0, v13, vcc
	global_load_dword v11, v[16:17], off offset:2816
	global_load_dword v4, v[16:17], off offset:1952
	global_load_dword v15, v[16:17], off offset:1088
	global_load_dword v7, v[16:17], off offset:224
	global_load_dword v19, v[12:13], off offset:3456
	global_load_dword v6, v[12:13], off offset:2592
	global_load_dword v9, v[12:13], off offset:864
	global_load_dword v8, v[22:23], off offset:1312
	global_load_dword v21, v[22:23], off offset:448
	global_load_dword v14, v[16:17], off offset:3680
	s_waitcnt vmcnt(8)
	v_lshrrev_b32_e32 v12, 16, v4
	v_lshrrev_b32_e32 v23, 16, v5
	v_lshrrev_b32_e32 v20, 16, v3
	s_waitcnt vmcnt(5)
	v_lshrrev_b32_e32 v25, 16, v19
	v_lshrrev_b32_e32 v22, 16, v15
	v_lshrrev_b32_e32 v26, 16, v11
	;; [unrolled: 4-line block ×3, first 2 shown]
	s_waitcnt vmcnt(1)
	v_lshrrev_b32_e32 v24, 16, v21
	s_waitcnt vmcnt(0)
	v_lshrrev_b32_e32 v18, 16, v14
	v_lshrrev_b32_e32 v16, 16, v8
.LBB0_11:
	s_or_b64 exec, exec, s[2:3]
	v_add_f16_e32 v28, v19, v11
	v_add_f16_e32 v27, v5, v19
	v_fma_f16 v5, v28, -0.5, v5
	v_sub_f16_e32 v28, v25, v26
	s_mov_b32 s3, 0xbaee
	s_movk_i32 s2, 0x3aee
	v_fma_f16 v29, v28, s3, v5
	v_fma_f16 v5, v28, s2, v5
	v_add_f16_e32 v28, v23, v25
	v_add_f16_e32 v25, v25, v26
	;; [unrolled: 1-line block ×3, first 2 shown]
	v_fma_f16 v23, v25, -0.5, v23
	v_sub_f16_e32 v11, v19, v11
	v_add_f16_e32 v25, v15, v21
	v_fma_f16 v19, v11, s2, v23
	v_fma_f16 v11, v11, s3, v23
	v_add_f16_e32 v23, v3, v15
	v_fma_f16 v3, v25, -0.5, v3
	v_sub_f16_e32 v25, v22, v24
	v_add_f16_e32 v28, v28, v26
	v_fma_f16 v26, v25, s3, v3
	v_fma_f16 v3, v25, s2, v3
	v_add_f16_e32 v25, v20, v22
	v_add_f16_e32 v22, v22, v24
	v_fma_f16 v20, v22, -0.5, v20
	v_sub_f16_e32 v15, v15, v21
	v_add_f16_e32 v23, v23, v21
	v_fma_f16 v21, v15, s2, v20
	v_mul_f16_e32 v22, 0xbaee, v21
	v_fma_f16 v15, v15, s3, v20
	v_fma_f16 v22, v26, 0.5, v22
	v_mul_f16_e32 v26, 0x3aee, v26
	v_mul_f16_e32 v30, 0xbaee, v15
	v_fma_f16 v21, v21, 0.5, v26
	v_mul_f16_e32 v15, -0.5, v15
	v_fma_f16 v30, v3, -0.5, v30
	v_add_f16_e32 v26, v19, v21
	v_fma_f16 v3, v3, s2, v15
	v_sub_f16_e32 v19, v19, v21
	v_add_f16_e32 v21, v7, v14
	v_add_f16_e32 v15, v11, v3
	v_sub_f16_e32 v3, v11, v3
	v_add_f16_e32 v11, v9, v7
	v_fma_f16 v9, v21, -0.5, v9
	v_sub_f16_e32 v21, v17, v18
	v_add_f16_e32 v20, v27, v23
	v_sub_f16_e32 v23, v27, v23
	v_fma_f16 v27, v21, s3, v9
	v_fma_f16 v9, v21, s2, v9
	v_add_f16_e32 v21, v13, v17
	v_add_f16_e32 v17, v17, v18
	v_fma_f16 v13, v17, -0.5, v13
	v_sub_f16_e32 v7, v7, v14
	v_add_f16_e32 v17, v4, v8
	v_add_f16_e32 v11, v11, v14
	v_fma_f16 v14, v7, s2, v13
	v_fma_f16 v7, v7, s3, v13
	v_add_f16_e32 v13, v6, v4
	v_fma_f16 v6, v17, -0.5, v6
	v_sub_f16_e32 v17, v12, v16
	v_add_f16_e32 v21, v21, v18
	v_fma_f16 v18, v17, s3, v6
	v_fma_f16 v6, v17, s2, v6
	v_add_f16_e32 v17, v10, v12
	v_add_f16_e32 v12, v12, v16
	v_fma_f16 v10, v12, -0.5, v10
	v_sub_f16_e32 v4, v4, v8
	v_add_f16_e32 v25, v25, v24
	v_add_f16_e32 v13, v13, v8
	v_fma_f16 v8, v4, s2, v10
	v_fma_f16 v4, v4, s3, v10
	v_add_f16_e32 v32, v28, v25
	v_sub_f16_e32 v25, v28, v25
	v_mul_f16_e32 v12, 0xbaee, v8
	v_mul_f16_e32 v28, 0xbaee, v4
	v_mul_f16_e32 v4, -0.5, v4
	v_fma_f16 v12, v18, 0.5, v12
	v_mul_f16_e32 v18, 0x3aee, v18
	v_fma_f16 v4, v6, s2, v4
	v_add_f16_e32 v24, v29, v22
	v_add_f16_e32 v31, v5, v30
	v_add_f16_e32 v17, v17, v16
	v_fma_f16 v28, v6, -0.5, v28
	v_fma_f16 v8, v8, 0.5, v18
	v_add_f16_e32 v6, v7, v4
	v_sub_f16_e32 v7, v7, v4
	v_mul_u32_u24_e32 v4, 6, v2
	v_sub_f16_e32 v22, v29, v22
	v_sub_f16_e32 v5, v5, v30
	v_add_f16_e32 v10, v11, v13
	v_add_f16_e32 v30, v21, v17
	;; [unrolled: 1-line block ×3, first 2 shown]
	v_sub_f16_e32 v11, v11, v13
	v_sub_f16_e32 v13, v21, v17
	;; [unrolled: 1-line block ×3, first 2 shown]
	v_lshl_add_u32 v14, v4, 1, 0
	v_pack_b32_f16 v4, v31, v23
	v_pack_b32_f16 v17, v20, v24
	v_add_f16_e32 v16, v27, v12
	v_add_f16_e32 v29, v9, v28
	ds_write2_b32 v14, v17, v4 offset1:1
	v_pack_b32_f16 v4, v22, v5
	v_sub_f16_e32 v12, v27, v12
	v_sub_f16_e32 v9, v9, v28
	ds_write_b32 v14, v4 offset:8
	v_add_u32_e32 v5, 0xa20, v14
	v_pack_b32_f16 v4, v29, v11
	v_pack_b32_f16 v10, v10, v16
	ds_write2_b32 v5, v10, v4 offset1:1
	v_pack_b32_f16 v4, v12, v9
	ds_write_b32 v14, v4 offset:2600
	v_mad_i32_i24 v4, v2, -10, v14
	v_pack_b32_f16 v3, v19, v3
	s_waitcnt lgkmcnt(0)
	s_barrier
	ds_read_u16 v16, v4
	ds_read_u16 v17, v4 offset:3456
	ds_read_u16 v20, v4 offset:3024
	;; [unrolled: 1-line block ×11, first 2 shown]
	s_waitcnt lgkmcnt(0)
	s_barrier
	ds_write_b32 v14, v3 offset:8
	v_pack_b32_f16 v3, v6, v13
	v_pack_b32_f16 v6, v30, v18
	ds_write2_b32 v5, v6, v3 offset1:1
	v_pack_b32_f16 v3, v8, v7
	s_movk_i32 s6, 0xab
	ds_write_b32 v14, v3 offset:2600
	v_mul_lo_u16_sdwa v3, v2, s6 dst_sel:DWORD dst_unused:UNUSED_PAD src0_sel:BYTE_0 src1_sel:DWORD
	v_lshrrev_b16_e32 v3, 10, v3
	v_pack_b32_f16 v9, v15, v25
	v_pack_b32_f16 v10, v32, v26
	v_mul_lo_u16_e32 v5, 6, v3
	ds_write2_b32 v14, v10, v9 offset1:1
	v_sub_u16_e32 v5, v2, v5
	v_mov_b32_e32 v14, 5
	v_mul_u32_u24_sdwa v6, v5, v14 dst_sel:DWORD dst_unused:UNUSED_PAD src0_sel:BYTE_0 src1_sel:DWORD
	v_lshlrev_b32_e32 v10, 2, v6
	s_waitcnt lgkmcnt(0)
	s_barrier
	global_load_dwordx4 v[6:9], v10, s[4:5]
	global_load_dword v18, v10, s[4:5] offset:16
	v_add_u32_e32 v15, 0xd8, v2
	s_mov_b32 s6, 0xaaab
	v_mul_u32_u24_sdwa v10, v15, s6 dst_sel:DWORD dst_unused:UNUSED_PAD src0_sel:WORD_0 src1_sel:DWORD
	v_lshrrev_b32_e32 v19, 18, v10
	v_mul_lo_u16_e32 v10, 6, v19
	v_sub_u16_e32 v25, v15, v10
	v_mul_u32_u24_e32 v10, 5, v25
	v_lshlrev_b32_e32 v26, 2, v10
	global_load_dwordx4 v[10:13], v26, s[4:5]
	global_load_dword v30, v26, s[4:5] offset:16
	ds_read_u16 v26, v4
	ds_read_u16 v32, v4 offset:3456
	ds_read_u16 v34, v4 offset:3024
	;; [unrolled: 1-line block ×11, first 2 shown]
	v_mul_u32_u24_e32 v3, 0x48, v3
	s_waitcnt lgkmcnt(0)
	s_barrier
	s_mov_b32 s6, 0xe38f
	s_waitcnt vmcnt(3)
	v_mul_f16_sdwa v44, v39, v6 dst_sel:DWORD dst_unused:UNUSED_PAD src0_sel:DWORD src1_sel:WORD_1
	v_fma_f16 v44, v27, v6, v44
	v_mul_f16_sdwa v27, v27, v6 dst_sel:DWORD dst_unused:UNUSED_PAD src0_sel:DWORD src1_sel:WORD_1
	v_fma_f16 v6, v39, v6, -v27
	v_mul_f16_sdwa v27, v37, v7 dst_sel:DWORD dst_unused:UNUSED_PAD src0_sel:DWORD src1_sel:WORD_1
	v_fma_f16 v27, v23, v7, v27
	v_mul_f16_sdwa v23, v23, v7 dst_sel:DWORD dst_unused:UNUSED_PAD src0_sel:DWORD src1_sel:WORD_1
	v_fma_f16 v7, v37, v7, -v23
	;; [unrolled: 4-line block ×4, first 2 shown]
	s_waitcnt vmcnt(2)
	v_mul_f16_sdwa v17, v42, v18 dst_sel:DWORD dst_unused:UNUSED_PAD src0_sel:DWORD src1_sel:WORD_1
	v_fma_f16 v17, v31, v18, v17
	v_mul_f16_sdwa v31, v31, v18 dst_sel:DWORD dst_unused:UNUSED_PAD src0_sel:DWORD src1_sel:WORD_1
	v_fma_f16 v18, v42, v18, -v31
	s_waitcnt vmcnt(1)
	v_mul_f16_sdwa v31, v38, v10 dst_sel:DWORD dst_unused:UNUSED_PAD src0_sel:DWORD src1_sel:WORD_1
	v_fma_f16 v31, v24, v10, v31
	v_mul_f16_sdwa v24, v24, v10 dst_sel:DWORD dst_unused:UNUSED_PAD src0_sel:DWORD src1_sel:WORD_1
	v_fma_f16 v10, v38, v10, -v24
	v_mul_f16_sdwa v24, v36, v11 dst_sel:DWORD dst_unused:UNUSED_PAD src0_sel:DWORD src1_sel:WORD_1
	v_fma_f16 v24, v22, v11, v24
	v_mul_f16_sdwa v22, v22, v11 dst_sel:DWORD dst_unused:UNUSED_PAD src0_sel:DWORD src1_sel:WORD_1
	v_fma_f16 v11, v36, v11, -v22
	;; [unrolled: 4-line block ×3, first 2 shown]
	v_mul_f16_sdwa v20, v43, v13 dst_sel:DWORD dst_unused:UNUSED_PAD src0_sel:DWORD src1_sel:WORD_1
	v_mul_f16_sdwa v32, v33, v13 dst_sel:DWORD dst_unused:UNUSED_PAD src0_sel:DWORD src1_sel:WORD_1
	v_fma_f16 v20, v33, v13, v20
	v_fma_f16 v13, v43, v13, -v32
	s_waitcnt vmcnt(0)
	v_mul_f16_sdwa v32, v41, v30 dst_sel:DWORD dst_unused:UNUSED_PAD src0_sel:DWORD src1_sel:WORD_1
	v_fma_f16 v32, v29, v30, v32
	v_mul_f16_sdwa v29, v29, v30 dst_sel:DWORD dst_unused:UNUSED_PAD src0_sel:DWORD src1_sel:WORD_1
	v_add_f16_e32 v33, v27, v21
	v_fma_f16 v29, v41, v30, -v29
	v_add_f16_e32 v30, v16, v27
	v_fma_f16 v16, v33, -0.5, v16
	v_sub_f16_e32 v33, v7, v9
	v_fma_f16 v34, v33, s3, v16
	v_fma_f16 v16, v33, s2, v16
	v_add_f16_e32 v33, v26, v7
	v_add_f16_e32 v7, v7, v9
	v_fma_f16 v7, v7, -0.5, v26
	v_add_f16_e32 v26, v23, v17
	v_add_f16_e32 v33, v33, v9
	v_sub_f16_e32 v9, v27, v21
	v_fma_f16 v26, v26, -0.5, v44
	v_sub_f16_e32 v27, v8, v18
	v_fma_f16 v35, v27, s3, v26
	v_fma_f16 v26, v27, s2, v26
	v_add_f16_e32 v27, v6, v8
	v_add_f16_e32 v8, v8, v18
	;; [unrolled: 1-line block ×3, first 2 shown]
	v_fma_f16 v21, v9, s2, v7
	v_fma_f16 v7, v9, s3, v7
	v_add_f16_e32 v9, v44, v23
	v_fma_f16 v6, v8, -0.5, v6
	v_sub_f16_e32 v8, v23, v17
	v_add_f16_e32 v9, v9, v17
	v_fma_f16 v17, v8, s2, v6
	v_add_f16_e32 v27, v27, v18
	v_fma_f16 v6, v8, s3, v6
	v_mul_f16_e32 v18, 0xbaee, v17
	v_mul_f16_e32 v17, 0.5, v17
	v_mul_f16_e32 v36, 0xbaee, v6
	v_fma_f16 v17, v35, s2, v17
	v_mul_f16_e32 v6, -0.5, v6
	v_fma_f16 v18, v35, 0.5, v18
	v_add_f16_e32 v35, v21, v17
	v_fma_f16 v6, v26, s2, v6
	v_sub_f16_e32 v17, v21, v17
	v_add_f16_e32 v21, v24, v20
	v_fma_f16 v36, v26, -0.5, v36
	v_add_f16_e32 v26, v7, v6
	v_sub_f16_e32 v6, v7, v6
	v_add_f16_e32 v7, v28, v24
	v_fma_f16 v21, v21, -0.5, v28
	v_sub_f16_e32 v28, v11, v13
	v_add_f16_e32 v8, v30, v9
	v_sub_f16_e32 v9, v30, v9
	v_fma_f16 v30, v28, s3, v21
	v_fma_f16 v21, v28, s2, v21
	v_add_f16_e32 v28, v40, v11
	v_add_f16_e32 v11, v11, v13
	;; [unrolled: 1-line block ×3, first 2 shown]
	v_fma_f16 v11, v11, -0.5, v40
	v_sub_f16_e32 v13, v24, v20
	v_add_f16_e32 v24, v22, v32
	v_add_f16_e32 v7, v7, v20
	v_fma_f16 v20, v13, s2, v11
	v_fma_f16 v11, v13, s3, v11
	v_add_f16_e32 v13, v31, v22
	v_fma_f16 v24, v24, -0.5, v31
	v_sub_f16_e32 v31, v12, v29
	v_add_f16_e32 v38, v33, v27
	v_sub_f16_e32 v27, v33, v27
	v_fma_f16 v33, v31, s3, v24
	v_fma_f16 v24, v31, s2, v24
	v_add_f16_e32 v31, v10, v12
	v_add_f16_e32 v12, v12, v29
	v_fma_f16 v10, v12, -0.5, v10
	v_sub_f16_e32 v12, v22, v32
	v_fma_f16 v22, v12, s2, v10
	v_add_f16_e32 v31, v31, v29
	v_mul_f16_e32 v29, 0xbaee, v22
	v_mul_f16_e32 v22, 0.5, v22
	v_fma_f16 v22, v33, s2, v22
	v_fma_f16 v29, v33, 0.5, v29
	v_add_f16_e32 v33, v20, v22
	v_sub_f16_e32 v20, v20, v22
	v_mov_b32_e32 v22, 1
	v_fma_f16 v10, v12, s3, v10
	v_lshlrev_b32_sdwa v5, v22, v5 dst_sel:DWORD dst_unused:UNUSED_PAD src0_sel:DWORD src1_sel:BYTE_0
	v_add_f16_e32 v23, v34, v18
	v_sub_f16_e32 v18, v34, v18
	v_mul_f16_e32 v34, 0xbaee, v10
	v_add3_u32 v3, 0, v3, v5
	v_add_f16_e32 v37, v16, v36
	v_sub_f16_e32 v16, v16, v36
	v_add_f16_e32 v13, v13, v32
	v_fma_f16 v34, v24, -0.5, v34
	v_mul_f16_e32 v10, -0.5, v10
	ds_write_b16 v3, v8
	ds_write_b16 v3, v23 offset:12
	ds_write_b16 v3, v37 offset:24
	;; [unrolled: 1-line block ×5, first 2 shown]
	v_mul_u32_u24_e32 v5, 0x48, v19
	v_lshlrev_b32_e32 v8, 1, v25
	v_add_f16_e32 v12, v7, v13
	v_add_f16_e32 v32, v30, v29
	;; [unrolled: 1-line block ×3, first 2 shown]
	v_fma_f16 v10, v24, s2, v10
	v_sub_f16_e32 v21, v21, v34
	v_add3_u32 v5, 0, v5, v8
	v_add_f16_e32 v39, v28, v31
	v_add_f16_e32 v24, v11, v10
	v_sub_f16_e32 v7, v7, v13
	v_sub_f16_e32 v13, v30, v29
	;; [unrolled: 1-line block ×4, first 2 shown]
	ds_write_b16 v5, v12
	ds_write_b16 v5, v32 offset:12
	ds_write_b16 v5, v36 offset:24
	;; [unrolled: 1-line block ×5, first 2 shown]
	s_waitcnt lgkmcnt(0)
	s_barrier
	ds_read_u16 v16, v4
	ds_read_u16 v18, v4 offset:3456
	ds_read_u16 v19, v4 offset:3024
	;; [unrolled: 1-line block ×11, first 2 shown]
	s_waitcnt lgkmcnt(0)
	s_barrier
	ds_write_b16 v3, v38
	ds_write_b16 v3, v35 offset:12
	ds_write_b16 v3, v26 offset:24
	;; [unrolled: 1-line block ×5, first 2 shown]
	ds_write_b16 v5, v39
	ds_write_b16 v5, v33 offset:12
	ds_write_b16 v5, v24 offset:24
	;; [unrolled: 1-line block ×5, first 2 shown]
	v_mov_b32_e32 v3, 57
	v_mul_lo_u16_sdwa v3, v2, v3 dst_sel:DWORD dst_unused:UNUSED_PAD src0_sel:BYTE_0 src1_sel:DWORD
	v_lshrrev_b16_e32 v3, 11, v3
	v_mul_lo_u16_e32 v5, 36, v3
	v_sub_u16_e32 v5, v2, v5
	v_mul_u32_u24_sdwa v6, v5, v14 dst_sel:DWORD dst_unused:UNUSED_PAD src0_sel:BYTE_0 src1_sel:DWORD
	v_lshlrev_b32_e32 v10, 2, v6
	s_waitcnt lgkmcnt(0)
	s_barrier
	global_load_dwordx4 v[6:9], v10, s[4:5] offset:120
	global_load_dword v14, v10, s[4:5] offset:136
	v_mul_u32_u24_sdwa v10, v15, s6 dst_sel:DWORD dst_unused:UNUSED_PAD src0_sel:WORD_0 src1_sel:DWORD
	v_lshrrev_b32_e32 v17, 21, v10
	v_mul_lo_u16_e32 v10, 36, v17
	v_sub_u16_e32 v15, v15, v10
	v_mul_u32_u24_e32 v10, 5, v15
	v_lshlrev_b32_e32 v20, 2, v10
	global_load_dwordx4 v[10:13], v20, s[4:5] offset:120
	global_load_dword v24, v20, s[4:5] offset:136
	ds_read_u16 v20, v4
	ds_read_u16 v26, v4 offset:3456
	ds_read_u16 v27, v4 offset:3024
	;; [unrolled: 1-line block ×11, first 2 shown]
	v_mul_u32_u24_e32 v3, 0x1b0, v3
	v_lshlrev_b32_sdwa v5, v22, v5 dst_sel:DWORD dst_unused:UNUSED_PAD src0_sel:DWORD src1_sel:BYTE_0
	v_add3_u32 v3, 0, v3, v5
	s_waitcnt lgkmcnt(0)
	s_barrier
	v_mul_u32_u24_e32 v5, 0x1b0, v17
	s_waitcnt vmcnt(3)
	v_mul_f16_sdwa v43, v38, v6 dst_sel:DWORD dst_unused:UNUSED_PAD src0_sel:DWORD src1_sel:WORD_1
	v_fma_f16 v43, v30, v6, v43
	v_mul_f16_sdwa v30, v30, v6 dst_sel:DWORD dst_unused:UNUSED_PAD src0_sel:DWORD src1_sel:WORD_1
	v_fma_f16 v6, v38, v6, -v30
	v_mul_f16_sdwa v30, v35, v7 dst_sel:DWORD dst_unused:UNUSED_PAD src0_sel:DWORD src1_sel:WORD_1
	v_fma_f16 v30, v25, v7, v30
	v_mul_f16_sdwa v25, v25, v7 dst_sel:DWORD dst_unused:UNUSED_PAD src0_sel:DWORD src1_sel:WORD_1
	v_fma_f16 v7, v35, v7, -v25
	;; [unrolled: 4-line block ×4, first 2 shown]
	s_waitcnt vmcnt(2)
	v_mul_f16_sdwa v18, v41, v14 dst_sel:DWORD dst_unused:UNUSED_PAD src0_sel:DWORD src1_sel:WORD_1
	v_mul_f16_sdwa v26, v34, v14 dst_sel:DWORD dst_unused:UNUSED_PAD src0_sel:DWORD src1_sel:WORD_1
	v_fma_f16 v18, v34, v14, v18
	v_fma_f16 v14, v41, v14, -v26
	s_waitcnt vmcnt(1)
	v_mul_f16_sdwa v26, v37, v10 dst_sel:DWORD dst_unused:UNUSED_PAD src0_sel:DWORD src1_sel:WORD_1
	v_mul_f16_sdwa v28, v29, v10 dst_sel:DWORD dst_unused:UNUSED_PAD src0_sel:DWORD src1_sel:WORD_1
	v_fma_f16 v26, v29, v10, v26
	v_fma_f16 v10, v37, v10, -v28
	v_mul_f16_sdwa v28, v33, v11 dst_sel:DWORD dst_unused:UNUSED_PAD src0_sel:DWORD src1_sel:WORD_1
	v_fma_f16 v28, v23, v11, v28
	v_mul_f16_sdwa v23, v23, v11 dst_sel:DWORD dst_unused:UNUSED_PAD src0_sel:DWORD src1_sel:WORD_1
	v_fma_f16 v11, v33, v11, -v23
	v_mul_f16_sdwa v23, v27, v12 dst_sel:DWORD dst_unused:UNUSED_PAD src0_sel:DWORD src1_sel:WORD_1
	v_fma_f16 v23, v19, v12, v23
	v_mul_f16_sdwa v19, v19, v12 dst_sel:DWORD dst_unused:UNUSED_PAD src0_sel:DWORD src1_sel:WORD_1
	v_fma_f16 v12, v27, v12, -v19
	v_mul_f16_sdwa v19, v42, v13 dst_sel:DWORD dst_unused:UNUSED_PAD src0_sel:DWORD src1_sel:WORD_1
	v_mul_f16_sdwa v27, v36, v13 dst_sel:DWORD dst_unused:UNUSED_PAD src0_sel:DWORD src1_sel:WORD_1
	v_fma_f16 v19, v36, v13, v19
	v_fma_f16 v13, v42, v13, -v27
	s_waitcnt vmcnt(0)
	v_mul_f16_sdwa v27, v40, v24 dst_sel:DWORD dst_unused:UNUSED_PAD src0_sel:DWORD src1_sel:WORD_1
	v_fma_f16 v27, v32, v24, v27
	v_mul_f16_sdwa v29, v32, v24 dst_sel:DWORD dst_unused:UNUSED_PAD src0_sel:DWORD src1_sel:WORD_1
	v_add_f16_e32 v32, v30, v21
	v_fma_f16 v24, v40, v24, -v29
	v_add_f16_e32 v29, v16, v30
	v_fma_f16 v16, v32, -0.5, v16
	v_sub_f16_e32 v32, v7, v9
	v_fma_f16 v33, v32, s3, v16
	v_fma_f16 v16, v32, s2, v16
	v_add_f16_e32 v32, v20, v7
	v_add_f16_e32 v29, v29, v21
	v_add_f16_e32 v32, v32, v9
	v_add_f16_e32 v7, v7, v9
	v_sub_f16_e32 v9, v30, v21
	v_add_f16_e32 v21, v25, v18
	v_fma_f16 v21, v21, -0.5, v43
	v_sub_f16_e32 v30, v8, v14
	v_fma_f16 v34, v30, s3, v21
	v_fma_f16 v21, v30, s2, v21
	v_add_f16_e32 v30, v6, v8
	v_add_f16_e32 v8, v8, v14
	v_fma_f16 v7, v7, -0.5, v20
	v_fma_f16 v6, v8, -0.5, v6
	v_sub_f16_e32 v8, v25, v18
	v_fma_f16 v20, v9, s2, v7
	v_fma_f16 v7, v9, s3, v7
	v_add_f16_e32 v9, v43, v25
	v_add_f16_e32 v30, v30, v14
	v_fma_f16 v14, v8, s2, v6
	v_add_f16_e32 v9, v9, v18
	v_mul_f16_e32 v18, 0xbaee, v14
	v_mul_f16_e32 v14, 0.5, v14
	v_fma_f16 v6, v8, s3, v6
	v_fma_f16 v14, v34, s2, v14
	v_fma_f16 v18, v34, 0.5, v18
	v_mul_f16_e32 v35, 0xbaee, v6
	v_add_f16_e32 v34, v20, v14
	v_mul_f16_e32 v6, -0.5, v6
	v_sub_f16_e32 v14, v20, v14
	v_add_f16_e32 v20, v28, v19
	v_add_f16_e32 v8, v29, v9
	;; [unrolled: 1-line block ×3, first 2 shown]
	v_fma_f16 v6, v21, s2, v6
	v_sub_f16_e32 v9, v29, v9
	v_sub_f16_e32 v29, v32, v30
	v_fma_f16 v20, v20, -0.5, v31
	v_sub_f16_e32 v30, v11, v13
	v_fma_f16 v35, v21, -0.5, v35
	v_add_f16_e32 v21, v7, v6
	v_sub_f16_e32 v6, v7, v6
	v_add_f16_e32 v7, v31, v28
	v_fma_f16 v31, v30, s3, v20
	v_fma_f16 v20, v30, s2, v20
	v_add_f16_e32 v30, v39, v11
	v_add_f16_e32 v11, v11, v13
	;; [unrolled: 1-line block ×3, first 2 shown]
	v_fma_f16 v11, v11, -0.5, v39
	v_sub_f16_e32 v13, v28, v19
	v_add_f16_e32 v28, v23, v27
	v_add_f16_e32 v7, v7, v19
	v_fma_f16 v19, v13, s2, v11
	v_fma_f16 v11, v13, s3, v11
	v_add_f16_e32 v13, v26, v23
	v_fma_f16 v26, v28, -0.5, v26
	v_sub_f16_e32 v28, v12, v24
	v_fma_f16 v32, v28, s3, v26
	v_fma_f16 v26, v28, s2, v26
	v_add_f16_e32 v28, v10, v12
	v_add_f16_e32 v12, v12, v24
	v_fma_f16 v10, v12, -0.5, v10
	v_sub_f16_e32 v12, v23, v27
	v_fma_f16 v23, v12, s2, v10
	v_fma_f16 v10, v12, s3, v10
	v_add_f16_e32 v25, v33, v18
	v_sub_f16_e32 v18, v33, v18
	v_add_f16_e32 v28, v28, v24
	v_mul_f16_e32 v24, 0xbaee, v23
	v_mul_f16_e32 v33, 0xbaee, v10
	v_add_f16_e32 v36, v16, v35
	v_sub_f16_e32 v16, v16, v35
	v_add_f16_e32 v13, v13, v27
	v_fma_f16 v24, v32, 0.5, v24
	v_fma_f16 v33, v26, -0.5, v33
	v_mul_f16_e32 v23, 0.5, v23
	v_mul_f16_e32 v10, -0.5, v10
	ds_write_b16 v3, v8
	ds_write_b16 v3, v25 offset:72
	ds_write_b16 v3, v36 offset:144
	;; [unrolled: 1-line block ×5, first 2 shown]
	v_lshlrev_b32_e32 v8, 1, v15
	v_add_f16_e32 v12, v7, v13
	v_add_f16_e32 v27, v31, v24
	;; [unrolled: 1-line block ×3, first 2 shown]
	v_fma_f16 v23, v32, s2, v23
	v_fma_f16 v10, v26, s2, v10
	v_sub_f16_e32 v7, v7, v13
	v_sub_f16_e32 v13, v31, v24
	;; [unrolled: 1-line block ×3, first 2 shown]
	v_add3_u32 v5, 0, v5, v8
	v_add_f16_e32 v38, v30, v28
	v_add_f16_e32 v32, v19, v23
	;; [unrolled: 1-line block ×3, first 2 shown]
	v_sub_f16_e32 v24, v30, v28
	v_sub_f16_e32 v19, v19, v23
	;; [unrolled: 1-line block ×3, first 2 shown]
	ds_write_b16 v5, v12
	ds_write_b16 v5, v27 offset:72
	ds_write_b16 v5, v35 offset:144
	;; [unrolled: 1-line block ×5, first 2 shown]
	s_waitcnt lgkmcnt(0)
	s_barrier
	ds_read_u16 v11, v4
	ds_read_u16 v12, v4 offset:3456
	ds_read_u16 v13, v4 offset:3024
	;; [unrolled: 1-line block ×11, first 2 shown]
	s_waitcnt lgkmcnt(0)
	s_barrier
	ds_write_b16 v3, v37
	ds_write_b16 v3, v34 offset:72
	ds_write_b16 v3, v21 offset:144
	;; [unrolled: 1-line block ×5, first 2 shown]
	ds_write_b16 v5, v38
	ds_write_b16 v5, v32 offset:72
	ds_write_b16 v5, v26 offset:144
	;; [unrolled: 1-line block ×5, first 2 shown]
	v_mul_u32_u24_e32 v3, 5, v2
	v_lshlrev_b32_e32 v3, 2, v3
	s_waitcnt lgkmcnt(0)
	s_barrier
	global_load_dwordx4 v[6:9], v3, s[4:5] offset:840
	global_load_dword v5, v3, s[4:5] offset:856
	ds_read_u16 v3, v4
	ds_read_u16 v10, v4 offset:3456
	ds_read_u16 v14, v4 offset:3024
	;; [unrolled: 1-line block ×11, first 2 shown]
	s_waitcnt lgkmcnt(0)
	s_barrier
	s_waitcnt vmcnt(1)
	v_mul_f16_sdwa v33, v28, v6 dst_sel:DWORD dst_unused:UNUSED_PAD src0_sel:DWORD src1_sel:WORD_1
	v_fma_f16 v33, v20, v6, v33
	v_mul_f16_sdwa v20, v20, v6 dst_sel:DWORD dst_unused:UNUSED_PAD src0_sel:DWORD src1_sel:WORD_1
	v_fma_f16 v20, v28, v6, -v20
	v_mul_f16_sdwa v28, v24, v7 dst_sel:DWORD dst_unused:UNUSED_PAD src0_sel:DWORD src1_sel:WORD_1
	v_fma_f16 v28, v17, v7, v28
	v_mul_f16_sdwa v17, v17, v7 dst_sel:DWORD dst_unused:UNUSED_PAD src0_sel:DWORD src1_sel:WORD_1
	v_fma_f16 v17, v24, v7, -v17
	;; [unrolled: 4-line block ×4, first 2 shown]
	s_waitcnt vmcnt(0)
	v_mul_f16_sdwa v12, v31, v5 dst_sel:DWORD dst_unused:UNUSED_PAD src0_sel:DWORD src1_sel:WORD_1
	v_fma_f16 v12, v25, v5, v12
	v_mul_f16_sdwa v25, v25, v5 dst_sel:DWORD dst_unused:UNUSED_PAD src0_sel:DWORD src1_sel:WORD_1
	v_fma_f16 v25, v31, v5, -v25
	v_mul_f16_sdwa v31, v26, v6 dst_sel:DWORD dst_unused:UNUSED_PAD src0_sel:DWORD src1_sel:WORD_1
	v_fma_f16 v31, v18, v6, v31
	v_mul_f16_sdwa v18, v18, v6 dst_sel:DWORD dst_unused:UNUSED_PAD src0_sel:DWORD src1_sel:WORD_1
	v_fma_f16 v6, v26, v6, -v18
	v_mul_f16_sdwa v18, v21, v7 dst_sel:DWORD dst_unused:UNUSED_PAD src0_sel:DWORD src1_sel:WORD_1
	v_fma_f16 v18, v16, v7, v18
	v_mul_f16_sdwa v16, v16, v7 dst_sel:DWORD dst_unused:UNUSED_PAD src0_sel:DWORD src1_sel:WORD_1
	v_fma_f16 v7, v21, v7, -v16
	v_mul_f16_sdwa v16, v14, v8 dst_sel:DWORD dst_unused:UNUSED_PAD src0_sel:DWORD src1_sel:WORD_1
	v_fma_f16 v16, v13, v8, v16
	v_mul_f16_sdwa v13, v13, v8 dst_sel:DWORD dst_unused:UNUSED_PAD src0_sel:DWORD src1_sel:WORD_1
	v_fma_f16 v8, v14, v8, -v13
	v_mul_f16_sdwa v13, v32, v9 dst_sel:DWORD dst_unused:UNUSED_PAD src0_sel:DWORD src1_sel:WORD_1
	v_mul_f16_sdwa v14, v27, v9 dst_sel:DWORD dst_unused:UNUSED_PAD src0_sel:DWORD src1_sel:WORD_1
	v_fma_f16 v13, v27, v9, v13
	v_fma_f16 v9, v32, v9, -v14
	v_mul_f16_sdwa v14, v30, v5 dst_sel:DWORD dst_unused:UNUSED_PAD src0_sel:DWORD src1_sel:WORD_1
	v_fma_f16 v14, v23, v5, v14
	v_mul_f16_sdwa v21, v23, v5 dst_sel:DWORD dst_unused:UNUSED_PAD src0_sel:DWORD src1_sel:WORD_1
	v_add_f16_e32 v23, v28, v19
	v_fma_f16 v5, v30, v5, -v21
	v_add_f16_e32 v21, v11, v28
	v_fma_f16 v11, v23, -0.5, v11
	v_sub_f16_e32 v23, v17, v10
	v_fma_f16 v26, v23, s3, v11
	v_fma_f16 v11, v23, s2, v11
	v_add_f16_e32 v23, v3, v17
	v_add_f16_e32 v23, v23, v10
	;; [unrolled: 1-line block ×4, first 2 shown]
	v_fma_f16 v3, v10, -0.5, v3
	v_sub_f16_e32 v10, v28, v19
	v_add_f16_e32 v19, v24, v12
	v_fma_f16 v19, v19, -0.5, v33
	v_sub_f16_e32 v27, v15, v25
	v_fma_f16 v17, v10, s2, v3
	v_fma_f16 v3, v10, s3, v3
	v_add_f16_e32 v10, v33, v24
	v_fma_f16 v28, v27, s3, v19
	v_fma_f16 v19, v27, s2, v19
	v_add_f16_e32 v27, v20, v15
	v_add_f16_e32 v15, v15, v25
	;; [unrolled: 1-line block ×3, first 2 shown]
	v_fma_f16 v15, v15, -0.5, v20
	v_sub_f16_e32 v12, v24, v12
	v_fma_f16 v20, v12, s2, v15
	v_fma_f16 v12, v12, s3, v15
	v_mul_f16_e32 v24, 0xbaee, v20
	v_mul_f16_e32 v20, 0.5, v20
	v_mul_f16_e32 v30, 0xbaee, v12
	v_fma_f16 v20, v28, s2, v20
	v_mul_f16_e32 v12, -0.5, v12
	v_fma_f16 v24, v28, 0.5, v24
	v_add_f16_e32 v28, v17, v20
	v_fma_f16 v12, v19, s2, v12
	v_sub_f16_e32 v20, v17, v20
	v_add_f16_e32 v17, v18, v13
	v_fma_f16 v30, v19, -0.5, v30
	v_add_f16_e32 v19, v3, v12
	v_sub_f16_e32 v3, v3, v12
	v_add_f16_e32 v12, v22, v18
	v_fma_f16 v17, v17, -0.5, v22
	v_sub_f16_e32 v22, v7, v9
	v_add_f16_e32 v27, v27, v25
	v_add_f16_e32 v15, v21, v10
	;; [unrolled: 1-line block ×3, first 2 shown]
	v_sub_f16_e32 v10, v21, v10
	v_sub_f16_e32 v21, v26, v24
	v_fma_f16 v24, v22, s3, v17
	v_fma_f16 v17, v22, s2, v17
	v_add_f16_e32 v22, v29, v7
	v_add_f16_e32 v22, v22, v9
	;; [unrolled: 1-line block ×3, first 2 shown]
	v_sub_f16_e32 v9, v18, v13
	v_add_f16_e32 v18, v16, v14
	v_fma_f16 v18, v18, -0.5, v31
	v_sub_f16_e32 v26, v8, v5
	v_add_f16_e32 v33, v23, v27
	v_sub_f16_e32 v23, v23, v27
	v_fma_f16 v27, v26, s3, v18
	v_fma_f16 v18, v26, s2, v18
	v_add_f16_e32 v26, v6, v8
	v_add_f16_e32 v26, v26, v5
	;; [unrolled: 1-line block ×3, first 2 shown]
	v_fma_f16 v7, v7, -0.5, v29
	v_fma_f16 v5, v5, -0.5, v6
	v_sub_f16_e32 v6, v16, v14
	v_add_f16_e32 v12, v12, v13
	v_fma_f16 v13, v9, s2, v7
	v_fma_f16 v7, v9, s3, v7
	v_add_f16_e32 v9, v31, v16
	v_fma_f16 v8, v6, s2, v5
	v_fma_f16 v5, v6, s3, v5
	v_add_f16_e32 v9, v9, v14
	v_mul_f16_e32 v14, 0xbaee, v8
	v_mul_f16_e32 v29, 0xbaee, v5
	v_fma_f16 v14, v27, 0.5, v14
	v_fma_f16 v29, v18, -0.5, v29
	v_mul_f16_e32 v8, 0.5, v8
	v_mul_f16_e32 v5, -0.5, v5
	v_add_f16_e32 v32, v11, v30
	v_sub_f16_e32 v11, v11, v30
	v_add_f16_e32 v6, v12, v9
	v_add_f16_e32 v16, v24, v14
	v_fma_f16 v8, v27, s2, v8
	v_fma_f16 v5, v18, s2, v5
	v_sub_f16_e32 v9, v12, v9
	v_sub_f16_e32 v12, v24, v14
	;; [unrolled: 1-line block ×3, first 2 shown]
	v_add_f16_e32 v30, v17, v29
	v_add_f16_e32 v31, v22, v26
	;; [unrolled: 1-line block ×4, first 2 shown]
	v_sub_f16_e32 v22, v22, v26
	v_sub_f16_e32 v24, v13, v8
	;; [unrolled: 1-line block ×3, first 2 shown]
	ds_write_b16 v4, v15
	ds_write_b16 v4, v25 offset:432
	ds_write_b16 v4, v32 offset:864
	;; [unrolled: 1-line block ×11, first 2 shown]
	s_waitcnt lgkmcnt(0)
	s_barrier
	ds_read_u16 v5, v4
	ds_read_u16 v6, v4 offset:432
	ds_read_u16 v7, v4 offset:864
	v_lshl_add_u32 v17, v2, 1, 0
	ds_read_u16 v10, v4 offset:3024
	ds_read_u16 v12, v4 offset:3456
	;; [unrolled: 1-line block ×9, first 2 shown]
	s_waitcnt lgkmcnt(0)
	s_barrier
	ds_write_b16 v4, v33
	ds_write_b16 v4, v28 offset:432
	ds_write_b16 v4, v19 offset:864
	ds_write_b16 v4, v23 offset:1296
	ds_write_b16 v4, v20 offset:1728
	ds_write_b16 v4, v3 offset:2160
	ds_write_b16 v4, v31 offset:2592
	ds_write_b16 v4, v27 offset:3024
	ds_write_b16 v4, v18 offset:3456
	ds_write_b16 v4, v22 offset:3888
	ds_write_b16 v4, v24 offset:4320
	ds_write_b16 v4, v26 offset:4752
	s_waitcnt lgkmcnt(0)
	s_barrier
	s_and_saveexec_b64 s[2:3], s[0:1]
	s_cbranch_execz .LBB0_13
; %bb.12:
	v_add_u32_e32 v18, 0x438, v2
	v_mov_b32_e32 v19, 0
	v_lshl_add_u64 v[20:21], v[18:19], 2, s[4:5]
	v_mov_b32_e32 v3, v19
	v_add_co_u32_e32 v20, vcc, 0x1000, v20
	v_lshlrev_b64 v[22:23], 2, v[2:3]
	s_nop 0
	v_addc_co_u32_e32 v21, vcc, 0, v21, vcc
	v_lshl_add_u64 v[24:25], s[4:5], 0, v[22:23]
	s_movk_i32 s1, 0x2000
	v_add_co_u32_e32 v26, vcc, s1, v24
	s_movk_i32 s0, 0x1000
	s_nop 0
	v_addc_co_u32_e32 v27, vcc, 0, v25, vcc
	global_load_dword v3, v[20:21], off offset:1064
	global_load_dword v28, v[26:27], off offset:424
	v_add_co_u32_e32 v20, vcc, s0, v24
	v_add_u32_e32 v2, 0x360, v2
	s_nop 0
	v_addc_co_u32_e32 v21, vcc, 0, v25, vcc
	global_load_dword v24, v[20:21], off offset:3656
	global_load_dword v25, v[20:21], off offset:2792
	;; [unrolled: 1-line block ×4, first 2 shown]
	ds_read_u16 v20, v17 offset:2160
	ds_read_u16 v17, v17 offset:1296
	;; [unrolled: 1-line block ×11, first 2 shown]
	ds_read_u16 v4, v4
	s_movk_i32 s1, 0x510
	s_waitcnt vmcnt(5)
	v_lshrrev_b32_e32 v37, 16, v3
	v_mul_f16_e32 v38, v16, v3
	s_waitcnt lgkmcnt(9)
	v_fma_f16 v38, v21, v37, v38
	v_mul_f16_e32 v16, v16, v37
	s_waitcnt vmcnt(4)
	v_lshrrev_b32_e32 v37, 16, v28
	v_mul_f16_e32 v39, v15, v28
	s_waitcnt vmcnt(3)
	v_lshrrev_b32_e32 v40, 16, v24
	;; [unrolled: 3-line block ×3, first 2 shown]
	s_waitcnt vmcnt(1)
	v_lshrrev_b32_e32 v44, 16, v26
	v_mul_f16_e32 v45, v10, v26
	s_waitcnt vmcnt(0)
	v_lshrrev_b32_e32 v46, 16, v27
	v_mul_f16_e32 v47, v11, v27
	v_mul_f16_e32 v43, v12, v25
	v_fma_f16 v3, v21, v3, -v16
	s_waitcnt lgkmcnt(8)
	v_fma_f16 v16, v29, v37, v39
	s_waitcnt lgkmcnt(7)
	v_fma_f16 v21, v30, v40, v41
	v_mul_f16_e32 v14, v14, v40
	v_mul_f16_e32 v12, v12, v42
	s_waitcnt lgkmcnt(5)
	v_fma_f16 v39, v32, v44, v45
	s_waitcnt lgkmcnt(4)
	v_fma_f16 v40, v33, v46, v47
	v_mul_f16_e32 v15, v15, v37
	v_fma_f16 v37, v31, v42, v43
	v_mul_f16_e32 v11, v11, v46
	v_fma_f16 v14, v30, v24, -v14
	v_fma_f16 v12, v31, v25, -v12
	v_sub_f16_e32 v24, v6, v39
	v_sub_f16_e32 v25, v5, v40
	v_mul_f16_e32 v10, v10, v44
	v_sub_f16_e32 v41, v20, v3
	v_fma_f16 v3, v29, v28, -v15
	v_sub_f16_e32 v15, v9, v21
	v_sub_f16_e32 v21, v7, v37
	v_fma_f16 v28, v6, 2.0, -v24
	v_fma_f16 v6, v5, 2.0, -v25
	v_fma_f16 v5, v33, v27, -v11
	v_fma_f16 v10, v32, v26, -v10
	s_waitcnt lgkmcnt(3)
	v_sub_f16_e32 v26, v34, v3
	v_fma_f16 v3, v9, 2.0, -v15
	v_sub_f16_e32 v9, v17, v14
	v_fma_f16 v14, v7, 2.0, -v21
	s_waitcnt lgkmcnt(0)
	v_sub_f16_e32 v7, v4, v5
	v_fma_f16 v11, v4, 2.0, -v7
	v_lshl_add_u64 v[4:5], v[0:1], 0, v[22:23]
	v_pack_b32_f16 v6, v6, v11
	v_fma_f16 v17, v17, 2.0, -v9
	global_store_dword v[4:5], v6, off
	v_add_co_u32_e32 v6, vcc, s0, v4
	s_mov_b32 s0, 0xca4587e7
	v_sub_f16_e32 v12, v35, v12
	v_sub_f16_e32 v10, v36, v10
	v_pack_b32_f16 v3, v3, v17
	v_mul_hi_u32 v2, v2, s0
	v_sub_f16_e32 v16, v8, v16
	v_fma_f16 v30, v35, 2.0, -v12
	v_fma_f16 v31, v36, 2.0, -v10
	v_pack_b32_f16 v11, v25, v7
	v_addc_co_u32_e32 v7, vcc, 0, v5, vcc
	v_pack_b32_f16 v10, v24, v10
	global_store_dword v[4:5], v3, off offset:2592
	v_pack_b32_f16 v3, v15, v9
	v_lshrrev_b32_e32 v2, 10, v2
	v_fma_f16 v8, v8, 2.0, -v16
	v_fma_f16 v29, v34, 2.0, -v26
	global_store_dword v[6:7], v11, off offset:1088
	v_pack_b32_f16 v11, v28, v31
	global_store_dword v[6:7], v10, off offset:1952
	v_pack_b32_f16 v10, v14, v30
	global_store_dword v[6:7], v3, off offset:3680
	v_mul_u32_u24_e32 v2, 0x510, v2
	v_mov_b32_e32 v3, v19
	global_store_dword v[4:5], v11, off offset:864
	global_store_dword v[4:5], v10, off offset:1728
	v_pack_b32_f16 v10, v21, v12
	v_lshl_add_u64 v[2:3], v[2:3], 2, v[4:5]
	v_pack_b32_f16 v4, v8, v29
	global_store_dword v[6:7], v10, off offset:2816
	global_store_dword v[2:3], v4, off offset:3456
	v_add_co_u32_e32 v2, vcc, 0x2000, v2
	v_pack_b32_f16 v4, v16, v26
	s_nop 0
	v_addc_co_u32_e32 v3, vcc, 0, v3, vcc
	global_store_dword v[2:3], v4, off offset:448
	v_mul_hi_u32 v2, v18, s0
	v_sub_f16_e32 v38, v13, v38
	v_lshrrev_b32_e32 v2, 10, v2
	v_fma_f16 v13, v13, 2.0, -v38
	v_fma_f16 v20, v20, 2.0, -v41
	v_mad_u32_u24 v18, v2, s1, v18
	v_lshl_add_u64 v[0:1], v[18:19], 2, v[0:1]
	v_pack_b32_f16 v2, v13, v20
	global_store_dword v[0:1], v2, off
	v_add_co_u32_e32 v0, vcc, 0x1000, v0
	v_pack_b32_f16 v2, v38, v41
	s_nop 0
	v_addc_co_u32_e32 v1, vcc, 0, v1, vcc
	global_store_dword v[0:1], v2, off offset:1088
.LBB0_13:
	s_endpgm
	.section	.rodata,"a",@progbits
	.p2align	6, 0x0
	.amdhsa_kernel fft_rtc_back_len2592_factors_6_6_6_6_2_wgs_216_tpt_216_halfLds_half_ip_CI_unitstride_sbrr_dirReg
		.amdhsa_group_segment_fixed_size 0
		.amdhsa_private_segment_fixed_size 0
		.amdhsa_kernarg_size 88
		.amdhsa_user_sgpr_count 2
		.amdhsa_user_sgpr_dispatch_ptr 0
		.amdhsa_user_sgpr_queue_ptr 0
		.amdhsa_user_sgpr_kernarg_segment_ptr 1
		.amdhsa_user_sgpr_dispatch_id 0
		.amdhsa_user_sgpr_kernarg_preload_length 0
		.amdhsa_user_sgpr_kernarg_preload_offset 0
		.amdhsa_user_sgpr_private_segment_size 0
		.amdhsa_uses_dynamic_stack 0
		.amdhsa_enable_private_segment 0
		.amdhsa_system_sgpr_workgroup_id_x 1
		.amdhsa_system_sgpr_workgroup_id_y 0
		.amdhsa_system_sgpr_workgroup_id_z 0
		.amdhsa_system_sgpr_workgroup_info 0
		.amdhsa_system_vgpr_workitem_id 0
		.amdhsa_next_free_vgpr 48
		.amdhsa_next_free_sgpr 22
		.amdhsa_accum_offset 48
		.amdhsa_reserve_vcc 1
		.amdhsa_float_round_mode_32 0
		.amdhsa_float_round_mode_16_64 0
		.amdhsa_float_denorm_mode_32 3
		.amdhsa_float_denorm_mode_16_64 3
		.amdhsa_dx10_clamp 1
		.amdhsa_ieee_mode 1
		.amdhsa_fp16_overflow 0
		.amdhsa_tg_split 0
		.amdhsa_exception_fp_ieee_invalid_op 0
		.amdhsa_exception_fp_denorm_src 0
		.amdhsa_exception_fp_ieee_div_zero 0
		.amdhsa_exception_fp_ieee_overflow 0
		.amdhsa_exception_fp_ieee_underflow 0
		.amdhsa_exception_fp_ieee_inexact 0
		.amdhsa_exception_int_div_zero 0
	.end_amdhsa_kernel
	.text
.Lfunc_end0:
	.size	fft_rtc_back_len2592_factors_6_6_6_6_2_wgs_216_tpt_216_halfLds_half_ip_CI_unitstride_sbrr_dirReg, .Lfunc_end0-fft_rtc_back_len2592_factors_6_6_6_6_2_wgs_216_tpt_216_halfLds_half_ip_CI_unitstride_sbrr_dirReg
                                        ; -- End function
	.section	.AMDGPU.csdata,"",@progbits
; Kernel info:
; codeLenInByte = 7372
; NumSgprs: 28
; NumVgprs: 48
; NumAgprs: 0
; TotalNumVgprs: 48
; ScratchSize: 0
; MemoryBound: 0
; FloatMode: 240
; IeeeMode: 1
; LDSByteSize: 0 bytes/workgroup (compile time only)
; SGPRBlocks: 3
; VGPRBlocks: 5
; NumSGPRsForWavesPerEU: 28
; NumVGPRsForWavesPerEU: 48
; AccumOffset: 48
; Occupancy: 8
; WaveLimiterHint : 1
; COMPUTE_PGM_RSRC2:SCRATCH_EN: 0
; COMPUTE_PGM_RSRC2:USER_SGPR: 2
; COMPUTE_PGM_RSRC2:TRAP_HANDLER: 0
; COMPUTE_PGM_RSRC2:TGID_X_EN: 1
; COMPUTE_PGM_RSRC2:TGID_Y_EN: 0
; COMPUTE_PGM_RSRC2:TGID_Z_EN: 0
; COMPUTE_PGM_RSRC2:TIDIG_COMP_CNT: 0
; COMPUTE_PGM_RSRC3_GFX90A:ACCUM_OFFSET: 11
; COMPUTE_PGM_RSRC3_GFX90A:TG_SPLIT: 0
	.text
	.p2alignl 6, 3212836864
	.fill 256, 4, 3212836864
	.type	__hip_cuid_789b80840c19a6d5,@object ; @__hip_cuid_789b80840c19a6d5
	.section	.bss,"aw",@nobits
	.globl	__hip_cuid_789b80840c19a6d5
__hip_cuid_789b80840c19a6d5:
	.byte	0                               ; 0x0
	.size	__hip_cuid_789b80840c19a6d5, 1

	.ident	"AMD clang version 19.0.0git (https://github.com/RadeonOpenCompute/llvm-project roc-6.4.0 25133 c7fe45cf4b819c5991fe208aaa96edf142730f1d)"
	.section	".note.GNU-stack","",@progbits
	.addrsig
	.addrsig_sym __hip_cuid_789b80840c19a6d5
	.amdgpu_metadata
---
amdhsa.kernels:
  - .agpr_count:     0
    .args:
      - .actual_access:  read_only
        .address_space:  global
        .offset:         0
        .size:           8
        .value_kind:     global_buffer
      - .offset:         8
        .size:           8
        .value_kind:     by_value
      - .actual_access:  read_only
        .address_space:  global
        .offset:         16
        .size:           8
        .value_kind:     global_buffer
      - .actual_access:  read_only
        .address_space:  global
        .offset:         24
        .size:           8
        .value_kind:     global_buffer
      - .offset:         32
        .size:           8
        .value_kind:     by_value
      - .actual_access:  read_only
        .address_space:  global
        .offset:         40
        .size:           8
        .value_kind:     global_buffer
      - .actual_access:  read_only
        .address_space:  global
        .offset:         48
        .size:           8
        .value_kind:     global_buffer
      - .offset:         56
        .size:           4
        .value_kind:     by_value
      - .actual_access:  read_only
        .address_space:  global
        .offset:         64
        .size:           8
        .value_kind:     global_buffer
      - .actual_access:  read_only
        .address_space:  global
        .offset:         72
        .size:           8
        .value_kind:     global_buffer
      - .address_space:  global
        .offset:         80
        .size:           8
        .value_kind:     global_buffer
    .group_segment_fixed_size: 0
    .kernarg_segment_align: 8
    .kernarg_segment_size: 88
    .language:       OpenCL C
    .language_version:
      - 2
      - 0
    .max_flat_workgroup_size: 216
    .name:           fft_rtc_back_len2592_factors_6_6_6_6_2_wgs_216_tpt_216_halfLds_half_ip_CI_unitstride_sbrr_dirReg
    .private_segment_fixed_size: 0
    .sgpr_count:     28
    .sgpr_spill_count: 0
    .symbol:         fft_rtc_back_len2592_factors_6_6_6_6_2_wgs_216_tpt_216_halfLds_half_ip_CI_unitstride_sbrr_dirReg.kd
    .uniform_work_group_size: 1
    .uses_dynamic_stack: false
    .vgpr_count:     48
    .vgpr_spill_count: 0
    .wavefront_size: 64
amdhsa.target:   amdgcn-amd-amdhsa--gfx950
amdhsa.version:
  - 1
  - 2
...

	.end_amdgpu_metadata
